;; amdgpu-corpus repo=ROCm/rocFFT kind=compiled arch=gfx906 opt=O3
	.text
	.amdgcn_target "amdgcn-amd-amdhsa--gfx906"
	.amdhsa_code_object_version 6
	.protected	fft_rtc_fwd_len121_factors_11_11_wgs_121_tpt_11_sp_op_CI_CI_sbcc_twdbase5_3step ; -- Begin function fft_rtc_fwd_len121_factors_11_11_wgs_121_tpt_11_sp_op_CI_CI_sbcc_twdbase5_3step
	.globl	fft_rtc_fwd_len121_factors_11_11_wgs_121_tpt_11_sp_op_CI_CI_sbcc_twdbase5_3step
	.p2align	8
	.type	fft_rtc_fwd_len121_factors_11_11_wgs_121_tpt_11_sp_op_CI_CI_sbcc_twdbase5_3step,@function
fft_rtc_fwd_len121_factors_11_11_wgs_121_tpt_11_sp_op_CI_CI_sbcc_twdbase5_3step: ; @fft_rtc_fwd_len121_factors_11_11_wgs_121_tpt_11_sp_op_CI_CI_sbcc_twdbase5_3step
; %bb.0:
	s_load_dwordx8 s[8:15], s[4:5], 0x8
	s_load_dwordx2 s[34:35], s[4:5], 0x28
	s_movk_i32 s0, 0x60
	v_cmp_gt_u32_e32 vcc, s0, v0
	s_and_saveexec_b64 s[0:1], vcc
	s_cbranch_execz .LBB0_2
; %bb.1:
	v_lshlrev_b32_e32 v3, 3, v0
	s_waitcnt lgkmcnt(0)
	global_load_dwordx2 v[1:2], v3, s[8:9]
	v_add_u32_e32 v3, 0, v3
	s_waitcnt vmcnt(0)
	ds_write_b64 v3, v[1:2] offset:10648
.LBB0_2:
	s_or_b64 exec, exec, s[0:1]
	s_waitcnt lgkmcnt(0)
	s_load_dwordx2 s[30:31], s[12:13], 0x8
	s_mov_b32 s7, 0
	s_waitcnt lgkmcnt(0)
	s_add_u32 s0, s30, -1
	s_addc_u32 s1, s31, -1
	s_add_u32 s2, 0, 0x5d161400
	s_addc_u32 s3, 0, 0x54
	s_mul_hi_u32 s9, s2, -11
	s_add_i32 s3, s3, 0x1745d120
	s_sub_i32 s9, s9, s2
	s_mul_i32 s18, s3, -11
	s_mul_i32 s8, s2, -11
	s_add_i32 s9, s9, s18
	s_mul_hi_u32 s16, s3, s8
	s_mul_i32 s17, s3, s8
	s_mul_i32 s19, s2, s9
	s_mul_hi_u32 s8, s2, s8
	s_mul_hi_u32 s18, s2, s9
	s_add_u32 s8, s8, s19
	s_addc_u32 s18, 0, s18
	s_add_u32 s8, s8, s17
	s_mul_hi_u32 s19, s3, s9
	s_addc_u32 s8, s18, s16
	s_addc_u32 s16, s19, 0
	s_mul_i32 s9, s3, s9
	s_add_u32 s8, s8, s9
	v_mov_b32_e32 v1, s8
	s_addc_u32 s9, 0, s16
	v_add_co_u32_e32 v1, vcc, s2, v1
	s_cmp_lg_u64 vcc, 0
	s_addc_u32 s2, s3, s9
	v_readfirstlane_b32 s9, v1
	s_mul_i32 s8, s0, s2
	s_mul_hi_u32 s16, s0, s9
	s_mul_hi_u32 s3, s0, s2
	s_add_u32 s8, s16, s8
	s_addc_u32 s3, 0, s3
	s_mul_hi_u32 s17, s1, s9
	s_mul_i32 s9, s1, s9
	s_add_u32 s8, s8, s9
	s_mul_hi_u32 s16, s1, s2
	s_addc_u32 s3, s3, s17
	s_addc_u32 s8, s16, 0
	s_mul_i32 s2, s1, s2
	s_add_u32 s2, s3, s2
	s_addc_u32 s3, 0, s8
	s_add_u32 s8, s2, 1
	s_addc_u32 s9, s3, 0
	s_add_u32 s16, s2, 2
	s_mul_i32 s18, s3, 11
	s_mul_hi_u32 s19, s2, 11
	s_addc_u32 s17, s3, 0
	s_add_i32 s19, s19, s18
	s_mul_i32 s18, s2, 11
	v_mov_b32_e32 v1, s18
	v_sub_co_u32_e32 v1, vcc, s0, v1
	s_cmp_lg_u64 vcc, 0
	s_subb_u32 s0, s1, s19
	v_subrev_co_u32_e32 v2, vcc, 11, v1
	s_cmp_lg_u64 vcc, 0
	s_subb_u32 s1, s0, 0
	v_readfirstlane_b32 s18, v2
	s_cmp_gt_u32 s18, 10
	s_cselect_b32 s18, -1, 0
	s_cmp_eq_u32 s1, 0
	s_cselect_b32 s1, s18, -1
	s_cmp_lg_u32 s1, 0
	s_cselect_b32 s1, s16, s8
	s_cselect_b32 s8, s17, s9
	v_readfirstlane_b32 s9, v1
	s_cmp_gt_u32 s9, 10
	s_cselect_b32 s9, -1, 0
	s_cmp_eq_u32 s0, 0
	s_cselect_b32 s0, s9, -1
	s_cmp_lg_u32 s0, 0
	s_cselect_b32 s1, s1, s2
	s_cselect_b32 s0, s8, s3
	s_add_u32 s36, s1, 1
	s_addc_u32 s37, s0, 0
	v_mov_b32_e32 v1, s36
	v_mov_b32_e32 v2, s37
	v_cmp_lt_u64_e32 vcc, s[6:7], v[1:2]
	s_mov_b64 s[8:9], 0
	s_cbranch_vccnz .LBB0_4
; %bb.3:
	v_cvt_f32_u32_e32 v1, s36
	s_sub_i32 s0, 0, s36
	s_mov_b32 s9, s7
	v_rcp_iflag_f32_e32 v1, v1
	v_mul_f32_e32 v1, 0x4f7ffffe, v1
	v_cvt_u32_f32_e32 v1, v1
	v_readfirstlane_b32 s1, v1
	s_mul_i32 s0, s0, s1
	s_mul_hi_u32 s0, s1, s0
	s_add_i32 s1, s1, s0
	s_mul_hi_u32 s0, s6, s1
	s_mul_i32 s2, s0, s36
	s_sub_i32 s2, s6, s2
	s_add_i32 s1, s0, 1
	s_sub_i32 s3, s2, s36
	s_cmp_ge_u32 s2, s36
	s_cselect_b32 s0, s1, s0
	s_cselect_b32 s2, s3, s2
	s_add_i32 s1, s0, 1
	s_cmp_ge_u32 s2, s36
	s_cselect_b32 s8, s1, s0
.LBB0_4:
	s_mul_i32 s0, s8, s37
	s_mul_hi_u32 s1, s8, s36
	s_add_i32 s1, s1, s0
	s_mul_i32 s0, s8, s36
	s_load_dwordx4 s[20:23], s[4:5], 0x60
	s_load_dwordx2 s[28:29], s[4:5], 0x0
	s_load_dwordx4 s[24:27], s[14:15], 0x0
	s_load_dwordx4 s[16:19], s[34:35], 0x0
	s_sub_u32 s33, s6, s0
	s_subb_u32 s0, 0, s1
	s_mul_i32 s0, s0, 11
	s_mul_hi_u32 s50, s33, 11
	s_add_i32 s50, s50, s0
	s_mul_i32 s33, s33, 11
	s_waitcnt lgkmcnt(0)
	s_mul_i32 s0, s26, s50
	s_mul_hi_u32 s1, s26, s33
	s_add_i32 s0, s1, s0
	s_mul_i32 s1, s27, s33
	s_add_i32 s5, s0, s1
	s_mul_i32 s0, s18, s50
	s_mul_hi_u32 s1, s18, s33
	s_add_i32 s0, s1, s0
	s_mul_i32 s1, s19, s33
	s_add_i32 s3, s0, s1
	v_cmp_lt_u64_e64 s[0:1], s[10:11], 3
	s_mul_i32 s4, s26, s33
	s_mul_i32 s2, s18, s33
	s_and_b64 vcc, exec, s[0:1]
	s_cbranch_vccnz .LBB0_14
; %bb.5:
	s_add_u32 s38, s34, 16
	s_addc_u32 s39, s35, 0
	s_add_u32 s40, s14, 16
	s_addc_u32 s41, s15, 0
	s_add_u32 s12, s12, 16
	v_mov_b32_e32 v1, s10
	s_addc_u32 s13, s13, 0
	s_mov_b64 s[42:43], 2
	s_mov_b32 s44, 0
	v_mov_b32_e32 v2, s11
.LBB0_6:                                ; =>This Inner Loop Header: Depth=1
	s_load_dwordx2 s[46:47], s[12:13], 0x0
	s_waitcnt lgkmcnt(0)
	s_or_b64 s[0:1], s[8:9], s[46:47]
	s_mov_b32 s45, s1
	s_cmp_lg_u64 s[44:45], 0
	s_cbranch_scc0 .LBB0_11
; %bb.7:                                ;   in Loop: Header=BB0_6 Depth=1
	v_cvt_f32_u32_e32 v3, s46
	v_cvt_f32_u32_e32 v4, s47
	s_sub_u32 s0, 0, s46
	s_subb_u32 s1, 0, s47
	v_mac_f32_e32 v3, 0x4f800000, v4
	v_rcp_f32_e32 v3, v3
	v_mul_f32_e32 v3, 0x5f7ffffc, v3
	v_mul_f32_e32 v4, 0x2f800000, v3
	v_trunc_f32_e32 v4, v4
	v_mac_f32_e32 v3, 0xcf800000, v4
	v_cvt_u32_f32_e32 v4, v4
	v_cvt_u32_f32_e32 v3, v3
	v_readfirstlane_b32 s45, v4
	v_readfirstlane_b32 s48, v3
	s_mul_i32 s49, s0, s45
	s_mul_hi_u32 s52, s0, s48
	s_mul_i32 s51, s1, s48
	s_add_i32 s49, s52, s49
	s_mul_i32 s53, s0, s48
	s_add_i32 s49, s49, s51
	s_mul_hi_u32 s51, s48, s49
	s_mul_i32 s52, s48, s49
	s_mul_hi_u32 s48, s48, s53
	s_add_u32 s48, s48, s52
	s_addc_u32 s51, 0, s51
	s_mul_hi_u32 s54, s45, s53
	s_mul_i32 s53, s45, s53
	s_add_u32 s48, s48, s53
	s_mul_hi_u32 s52, s45, s49
	s_addc_u32 s48, s51, s54
	s_addc_u32 s51, s52, 0
	s_mul_i32 s49, s45, s49
	s_add_u32 s48, s48, s49
	s_addc_u32 s49, 0, s51
	v_add_co_u32_e32 v3, vcc, s48, v3
	s_cmp_lg_u64 vcc, 0
	s_addc_u32 s45, s45, s49
	v_readfirstlane_b32 s49, v3
	s_mul_i32 s48, s0, s45
	s_mul_hi_u32 s51, s0, s49
	s_add_i32 s48, s51, s48
	s_mul_i32 s1, s1, s49
	s_add_i32 s48, s48, s1
	s_mul_i32 s0, s0, s49
	s_mul_hi_u32 s51, s45, s0
	s_mul_i32 s52, s45, s0
	s_mul_i32 s54, s49, s48
	s_mul_hi_u32 s0, s49, s0
	s_mul_hi_u32 s53, s49, s48
	s_add_u32 s0, s0, s54
	s_addc_u32 s49, 0, s53
	s_add_u32 s0, s0, s52
	s_mul_hi_u32 s1, s45, s48
	s_addc_u32 s0, s49, s51
	s_addc_u32 s1, s1, 0
	s_mul_i32 s48, s45, s48
	s_add_u32 s0, s0, s48
	s_addc_u32 s1, 0, s1
	v_add_co_u32_e32 v3, vcc, s0, v3
	s_cmp_lg_u64 vcc, 0
	s_addc_u32 s0, s45, s1
	v_readfirstlane_b32 s48, v3
	s_mul_i32 s45, s8, s0
	s_mul_hi_u32 s49, s8, s48
	s_mul_hi_u32 s1, s8, s0
	s_add_u32 s45, s49, s45
	s_addc_u32 s1, 0, s1
	s_mul_hi_u32 s51, s9, s48
	s_mul_i32 s48, s9, s48
	s_add_u32 s45, s45, s48
	s_mul_hi_u32 s49, s9, s0
	s_addc_u32 s1, s1, s51
	s_addc_u32 s45, s49, 0
	s_mul_i32 s0, s9, s0
	s_add_u32 s48, s1, s0
	s_addc_u32 s45, 0, s45
	s_mul_i32 s0, s46, s45
	s_mul_hi_u32 s1, s46, s48
	s_add_i32 s0, s1, s0
	s_mul_i32 s1, s47, s48
	s_add_i32 s49, s0, s1
	s_mul_i32 s1, s46, s48
	v_mov_b32_e32 v3, s1
	s_sub_i32 s0, s9, s49
	v_sub_co_u32_e32 v3, vcc, s8, v3
	s_cmp_lg_u64 vcc, 0
	s_subb_u32 s51, s0, s47
	v_subrev_co_u32_e64 v4, s[0:1], s46, v3
	s_cmp_lg_u64 s[0:1], 0
	s_subb_u32 s0, s51, 0
	s_cmp_ge_u32 s0, s47
	v_readfirstlane_b32 s51, v4
	s_cselect_b32 s1, -1, 0
	s_cmp_ge_u32 s51, s46
	s_cselect_b32 s51, -1, 0
	s_cmp_eq_u32 s0, s47
	s_cselect_b32 s0, s51, s1
	s_add_u32 s1, s48, 1
	s_addc_u32 s51, s45, 0
	s_add_u32 s52, s48, 2
	s_addc_u32 s53, s45, 0
	s_cmp_lg_u32 s0, 0
	s_cselect_b32 s0, s52, s1
	s_cselect_b32 s1, s53, s51
	s_cmp_lg_u64 vcc, 0
	s_subb_u32 s49, s9, s49
	s_cmp_ge_u32 s49, s47
	v_readfirstlane_b32 s52, v3
	s_cselect_b32 s51, -1, 0
	s_cmp_ge_u32 s52, s46
	s_cselect_b32 s52, -1, 0
	s_cmp_eq_u32 s49, s47
	s_cselect_b32 s49, s52, s51
	s_cmp_lg_u32 s49, 0
	s_cselect_b32 s1, s1, s45
	s_cselect_b32 s0, s0, s48
	s_cbranch_execnz .LBB0_9
.LBB0_8:                                ;   in Loop: Header=BB0_6 Depth=1
	v_cvt_f32_u32_e32 v3, s46
	s_sub_i32 s0, 0, s46
	v_rcp_iflag_f32_e32 v3, v3
	v_mul_f32_e32 v3, 0x4f7ffffe, v3
	v_cvt_u32_f32_e32 v3, v3
	v_readfirstlane_b32 s1, v3
	s_mul_i32 s0, s0, s1
	s_mul_hi_u32 s0, s1, s0
	s_add_i32 s1, s1, s0
	s_mul_hi_u32 s0, s8, s1
	s_mul_i32 s45, s0, s46
	s_sub_i32 s45, s8, s45
	s_add_i32 s1, s0, 1
	s_sub_i32 s48, s45, s46
	s_cmp_ge_u32 s45, s46
	s_cselect_b32 s0, s1, s0
	s_cselect_b32 s45, s48, s45
	s_add_i32 s1, s0, 1
	s_cmp_ge_u32 s45, s46
	s_cselect_b32 s0, s1, s0
	s_mov_b32 s1, s44
.LBB0_9:                                ;   in Loop: Header=BB0_6 Depth=1
	s_mul_i32 s37, s46, s37
	s_mul_hi_u32 s45, s46, s36
	s_add_i32 s37, s45, s37
	s_mul_i32 s45, s47, s36
	s_add_i32 s37, s37, s45
	s_mul_i32 s45, s0, s47
	s_mul_hi_u32 s47, s0, s46
	s_load_dwordx2 s[48:49], s[40:41], 0x0
	s_add_i32 s45, s47, s45
	s_mul_i32 s47, s1, s46
	s_mul_i32 s36, s46, s36
	s_add_i32 s45, s45, s47
	s_mul_i32 s46, s0, s46
	s_sub_u32 s46, s8, s46
	s_subb_u32 s45, s9, s45
	s_waitcnt lgkmcnt(0)
	s_mul_i32 s8, s48, s45
	s_mul_hi_u32 s9, s48, s46
	s_add_i32 s47, s9, s8
	s_load_dwordx2 s[8:9], s[38:39], 0x0
	s_mul_i32 s49, s49, s46
	s_add_i32 s47, s47, s49
	s_mul_i32 s48, s48, s46
	s_add_u32 s4, s48, s4
	s_addc_u32 s5, s47, s5
	s_waitcnt lgkmcnt(0)
	s_mul_i32 s45, s8, s45
	s_mul_hi_u32 s47, s8, s46
	s_add_i32 s45, s47, s45
	s_mul_i32 s9, s9, s46
	s_add_i32 s45, s45, s9
	s_mul_i32 s8, s8, s46
	s_add_u32 s2, s8, s2
	s_addc_u32 s3, s45, s3
	s_add_u32 s42, s42, 1
	s_addc_u32 s43, s43, 0
	;; [unrolled: 2-line block ×4, first 2 shown]
	v_cmp_ge_u64_e32 vcc, s[42:43], v[1:2]
	s_add_u32 s12, s12, 8
	s_addc_u32 s13, s13, 0
	s_cbranch_vccnz .LBB0_12
; %bb.10:                               ;   in Loop: Header=BB0_6 Depth=1
	s_mov_b64 s[8:9], s[0:1]
	s_branch .LBB0_6
.LBB0_11:                               ;   in Loop: Header=BB0_6 Depth=1
                                        ; implicit-def: $sgpr0_sgpr1
	s_branch .LBB0_8
.LBB0_12:
	v_mov_b32_e32 v1, s36
	v_mov_b32_e32 v2, s37
	v_cmp_lt_u64_e32 vcc, s[6:7], v[1:2]
	s_mov_b64 s[8:9], 0
	s_cbranch_vccnz .LBB0_14
; %bb.13:
	v_cvt_f32_u32_e32 v1, s36
	s_sub_i32 s0, 0, s36
	v_rcp_iflag_f32_e32 v1, v1
	v_mul_f32_e32 v1, 0x4f7ffffe, v1
	v_cvt_u32_f32_e32 v1, v1
	v_readfirstlane_b32 s1, v1
	s_mul_i32 s0, s0, s1
	s_mul_hi_u32 s0, s1, s0
	s_add_i32 s1, s1, s0
	s_mul_hi_u32 s0, s6, s1
	s_mul_i32 s7, s0, s36
	s_sub_i32 s6, s6, s7
	s_add_i32 s1, s0, 1
	s_sub_i32 s7, s6, s36
	s_cmp_ge_u32 s6, s36
	s_cselect_b32 s0, s1, s0
	s_cselect_b32 s6, s7, s6
	s_add_i32 s1, s0, 1
	s_cmp_ge_u32 s6, s36
	s_cselect_b32 s8, s1, s0
.LBB0_14:
	s_lshl_b64 s[12:13], s[10:11], 3
	s_mov_b32 s0, 0x1745d175
	s_add_u32 s6, s34, s12
	v_mul_hi_u32 v19, v0, s0
	s_addc_u32 s7, s35, s13
	s_add_u32 s0, s33, 11
	v_mov_b32_e32 v1, s30
	s_addc_u32 s1, s50, 0
	v_mov_b32_e32 v2, s31
	v_cmp_le_u64_e32 vcc, s[0:1], v[1:2]
	v_mul_u32_u24_e32 v1, 11, v19
	v_sub_u32_e32 v25, v0, v1
	v_mov_b32_e32 v1, s50
	v_add_co_u32_e64 v0, s[0:1], s33, v25
	v_addc_co_u32_e64 v1, s[0:1], 0, v1, s[0:1]
	v_cmp_gt_u64_e64 s[0:1], s[30:31], v[0:1]
	v_mov_b32_e32 v6, 0
	s_or_b64 s[0:1], vcc, s[0:1]
	v_lshlrev_b32_e32 v26, 3, v19
	v_add_u32_e32 v24, 11, v19
	v_add_u32_e32 v23, 22, v19
	v_add_u32_e32 v22, 33, v19
	v_add_u32_e32 v21, 44, v19
	v_add_u32_e32 v20, 55, v19
	s_and_saveexec_b64 s[10:11], s[0:1]
	s_cbranch_execz .LBB0_16
; %bb.15:
	s_add_u32 s12, s14, s12
	s_addc_u32 s13, s15, s13
	s_load_dwordx2 s[12:13], s[12:13], 0x0
	v_mad_u64_u32 v[0:1], s[14:15], s26, v25, 0
	v_mad_u64_u32 v[2:3], s[14:15], s24, v19, 0
	s_waitcnt lgkmcnt(0)
	s_mul_i32 s9, s13, s8
	s_mul_hi_u32 s13, s12, s8
	s_add_i32 s13, s13, s9
	s_mul_i32 s12, s12, s8
	v_mad_u64_u32 v[4:5], s[14:15], s27, v25, v[1:2]
	v_mov_b32_e32 v1, v3
	s_lshl_b64 s[12:13], s[12:13], 3
	v_mad_u64_u32 v[7:8], s[14:15], s25, v19, v[1:2]
	s_add_u32 s9, s20, s12
	s_addc_u32 s12, s21, s13
	s_lshl_b64 s[4:5], s[4:5], 3
	s_add_u32 s9, s9, s4
	s_addc_u32 s4, s12, s5
	v_mov_b32_e32 v1, v4
	v_mov_b32_e32 v3, v7
	;; [unrolled: 1-line block ×3, first 2 shown]
	v_mad_u64_u32 v[4:5], s[4:5], s24, v24, 0
	v_lshlrev_b64 v[0:1], 3, v[0:1]
	v_mad_u64_u32 v[9:10], s[4:5], s24, v21, 0
	v_add_co_u32_e32 v35, vcc, s9, v0
	v_addc_co_u32_e32 v36, vcc, v7, v1, vcc
	v_lshlrev_b64 v[0:1], 3, v[2:3]
	v_mov_b32_e32 v2, v5
	v_mad_u64_u32 v[2:3], s[4:5], s25, v24, v[2:3]
	v_mad_u64_u32 v[7:8], s[4:5], s24, v22, 0
	v_mov_b32_e32 v5, v2
	v_lshlrev_b64 v[2:3], 3, v[4:5]
	v_mad_u64_u32 v[4:5], s[4:5], s24, v23, 0
	v_mad_u64_u32 v[11:12], s[4:5], s24, v20, 0
	;; [unrolled: 1-line block ×3, first 2 shown]
	v_mov_b32_e32 v5, v8
	v_mad_u64_u32 v[14:15], s[4:5], s25, v22, v[5:6]
	v_add_co_u32_e32 v0, vcc, v35, v0
	v_addc_co_u32_e32 v1, vcc, v36, v1, vcc
	v_mov_b32_e32 v5, v13
	v_mov_b32_e32 v8, v10
	;; [unrolled: 1-line block ×3, first 2 shown]
	v_add_co_u32_e32 v2, vcc, v35, v2
	v_add_u32_e32 v31, 0x42, v19
	v_mad_u64_u32 v[12:13], s[4:5], s25, v20, v[10:11]
	v_lshlrev_b64 v[4:5], 3, v[4:5]
	v_addc_co_u32_e32 v3, vcc, v36, v3, vcc
	v_mad_u64_u32 v[15:16], s[4:5], s25, v21, v[8:9]
	v_mov_b32_e32 v8, v14
	v_mad_u64_u32 v[13:14], s[4:5], s24, v31, 0
	v_lshlrev_b64 v[7:8], 3, v[7:8]
	v_add_co_u32_e32 v4, vcc, v35, v4
	v_addc_co_u32_e32 v5, vcc, v36, v5, vcc
	v_add_co_u32_e32 v7, vcc, v35, v7
	v_mov_b32_e32 v10, v15
	v_addc_co_u32_e32 v8, vcc, v36, v8, vcc
	global_load_dwordx2 v[15:16], v[0:1], off
	global_load_dwordx2 v[17:18], v[2:3], off
	;; [unrolled: 1-line block ×4, first 2 shown]
	v_mov_b32_e32 v0, v14
	v_mad_u64_u32 v[0:1], s[4:5], s25, v31, v[0:1]
	v_add_u32_e32 v5, 0x4d, v19
	v_lshlrev_b64 v[9:10], 3, v[9:10]
	v_mad_u64_u32 v[1:2], s[4:5], s24, v5, 0
	v_lshlrev_b64 v[11:12], 3, v[11:12]
	v_add_co_u32_e32 v9, vcc, v35, v9
	v_addc_co_u32_e32 v10, vcc, v36, v10, vcc
	v_add_co_u32_e32 v3, vcc, v35, v11
	v_mov_b32_e32 v14, v0
	v_mov_b32_e32 v0, v2
	v_addc_co_u32_e32 v4, vcc, v36, v12, vcc
	v_mad_u64_u32 v[11:12], s[4:5], s25, v5, v[0:1]
	v_add_u32_e32 v5, 0x58, v19
	v_lshlrev_b64 v[7:8], 3, v[13:14]
	v_mad_u64_u32 v[12:13], s[4:5], s24, v5, 0
	v_mov_b32_e32 v2, v11
	v_lshlrev_b64 v[0:1], 3, v[1:2]
	v_mov_b32_e32 v2, v13
	v_mad_u64_u32 v[13:14], s[4:5], s25, v5, v[2:3]
	v_add_u32_e32 v5, 0x63, v19
	v_mad_u64_u32 v[31:32], s[4:5], s24, v5, 0
	v_lshlrev_b64 v[11:12], 3, v[12:13]
	v_add_co_u32_e32 v7, vcc, v35, v7
	v_mov_b32_e32 v2, v32
	v_mad_u64_u32 v[13:14], s[4:5], s25, v5, v[2:3]
	v_add_u32_e32 v5, 0x6e, v19
	v_mad_u64_u32 v[33:34], s[4:5], s24, v5, 0
	v_mov_b32_e32 v32, v13
	v_addc_co_u32_e32 v8, vcc, v36, v8, vcc
	v_mov_b32_e32 v2, v34
	v_lshlrev_b64 v[13:14], 3, v[31:32]
	v_mad_u64_u32 v[31:32], s[4:5], s25, v5, v[2:3]
	v_add_co_u32_e32 v0, vcc, v35, v0
	v_addc_co_u32_e32 v1, vcc, v36, v1, vcc
	v_add_co_u32_e32 v11, vcc, v35, v11
	v_addc_co_u32_e32 v12, vcc, v36, v12, vcc
	v_mov_b32_e32 v34, v31
	v_add_co_u32_e32 v13, vcc, v35, v13
	v_lshlrev_b64 v[31:32], 3, v[33:34]
	v_addc_co_u32_e32 v14, vcc, v36, v14, vcc
	v_add_co_u32_e32 v31, vcc, v35, v31
	v_addc_co_u32_e32 v32, vcc, v36, v32, vcc
	global_load_dwordx2 v[33:34], v[9:10], off
	global_load_dwordx2 v[35:36], v[3:4], off
	;; [unrolled: 1-line block ×7, first 2 shown]
	s_movk_i32 s4, 0x3c8
	v_mul_lo_u32 v0, v25, s4
	v_add3_u32 v0, 0, v0, v26
	s_waitcnt vmcnt(9)
	ds_write2_b64 v0, v[15:16], v[17:18] offset1:11
	s_waitcnt vmcnt(7)
	ds_write2_b64 v0, v[27:28], v[29:30] offset0:22 offset1:33
	s_waitcnt vmcnt(5)
	ds_write2_b64 v0, v[33:34], v[35:36] offset0:44 offset1:55
	s_waitcnt vmcnt(3)
	ds_write2_b64 v0, v[37:38], v[39:40] offset0:66 offset1:77
	s_waitcnt vmcnt(1)
	ds_write2_b64 v0, v[41:42], v[43:44] offset0:88 offset1:99
	s_waitcnt vmcnt(0)
	ds_write_b64 v0, v[45:46] offset:880
.LBB0_16:
	s_or_b64 exec, exec, s[10:11]
	s_add_u32 s4, 0, 0x5d161400
	s_addc_u32 s5, 0, 0x54
	s_add_i32 s5, s5, 0x1745d120
	s_mul_hi_u32 s12, s4, -11
	s_sub_i32 s12, s12, s4
	s_mul_i32 s13, s5, -11
	s_mul_i32 s9, s4, -11
	s_add_i32 s12, s12, s13
	s_mul_hi_u32 s10, s5, s9
	s_mul_i32 s11, s5, s9
	s_mul_i32 s14, s4, s12
	s_mul_hi_u32 s9, s4, s9
	s_mul_hi_u32 s13, s4, s12
	s_add_u32 s9, s9, s14
	s_addc_u32 s13, 0, s13
	s_add_u32 s9, s9, s11
	s_mul_hi_u32 s14, s5, s12
	s_addc_u32 s9, s13, s10
	s_addc_u32 s10, s14, 0
	s_mul_i32 s11, s5, s12
	s_add_u32 s9, s9, s11
	v_mov_b32_e32 v1, s9
	s_addc_u32 s10, 0, s10
	v_add_co_u32_e32 v2, vcc, s4, v1
	s_cmp_lg_u64 vcc, 0
	v_mov_b32_e32 v0, s50
	s_addc_u32 s9, s5, s10
	v_add_co_u32_e32 v11, vcc, s33, v19
	v_addc_co_u32_e32 v4, vcc, 0, v0, vcc
	v_mad_u64_u32 v[0:1], s[4:5], v11, s9, 0
	v_mul_hi_u32 v3, v11, v2
	s_mov_b32 s10, 0xbf27a4f4
	s_mov_b32 s11, 0xbf75a155
	s_movk_i32 s12, 0x50
	v_add_co_u32_e32 v5, vcc, v3, v0
	v_addc_co_u32_e32 v7, vcc, 0, v1, vcc
	v_mad_u64_u32 v[0:1], s[4:5], v4, v2, 0
	v_mad_u64_u32 v[2:3], s[4:5], v4, s9, 0
	v_add_co_u32_e32 v0, vcc, v5, v0
	v_addc_co_u32_e32 v0, vcc, v7, v1, vcc
	v_addc_co_u32_e32 v1, vcc, 0, v3, vcc
	v_add_co_u32_e32 v0, vcc, v0, v2
	v_addc_co_u32_e32 v2, vcc, 0, v1, vcc
	v_mad_u64_u32 v[0:1], s[4:5], v0, 11, 0
	s_load_dwordx2 s[4:5], s[6:7], 0x0
	s_waitcnt lgkmcnt(0)
	v_mad_u64_u32 v[1:2], s[6:7], v2, 11, v[1:2]
	v_sub_co_u32_e32 v0, vcc, v11, v0
	v_subb_co_u32_e32 v1, vcc, v4, v1, vcc
	v_subrev_co_u32_e32 v2, vcc, 11, v0
	v_subbrev_co_u32_e32 v3, vcc, 0, v1, vcc
	v_cmp_lt_u32_e32 vcc, 10, v2
	v_cndmask_b32_e64 v4, 0, -1, vcc
	v_cmp_eq_u32_e32 vcc, 0, v3
	v_cndmask_b32_e32 v3, -1, v4, vcc
	v_add_u32_e32 v4, -11, v2
	v_cmp_ne_u32_e32 vcc, 0, v3
	v_cndmask_b32_e32 v2, v2, v4, vcc
	v_cmp_lt_u32_e32 vcc, 10, v0
	v_cndmask_b32_e64 v3, 0, -1, vcc
	v_cmp_eq_u32_e32 vcc, 0, v1
	v_cndmask_b32_e32 v1, -1, v3, vcc
	v_cmp_ne_u32_e32 vcc, 0, v1
	v_cndmask_b32_e32 v0, v0, v2, vcc
	v_mul_u32_u24_e32 v0, 0x79, v0
	v_lshlrev_b32_e32 v0, 3, v0
	v_lshlrev_b32_e32 v1, 3, v25
	v_add3_u32 v12, 0, v0, v1
	s_barrier
	ds_read_b64 v[9:10], v12
	v_add3_u32 v4, 0, v1, v0
	ds_read2_b64 v[28:31], v4 offset0:11 offset1:22
	ds_read2_b64 v[32:35], v4 offset0:33 offset1:44
	;; [unrolled: 1-line block ×4, first 2 shown]
	s_mov_b32 s7, 0x3f575c64
	s_mov_b32 s9, 0x3ed4b147
	s_waitcnt lgkmcnt(3)
	v_add_f32_e32 v5, v9, v28
	v_add_f32_e32 v7, v10, v29
	;; [unrolled: 1-line block ×4, first 2 shown]
	s_waitcnt lgkmcnt(2)
	v_add_f32_e32 v5, v5, v32
	v_add_f32_e32 v7, v7, v33
	;; [unrolled: 1-line block ×4, first 2 shown]
	s_waitcnt lgkmcnt(0)
	v_add_f32_e32 v13, v38, v32
	v_add_f32_e32 v5, v39, v33
	v_sub_f32_e32 v14, v32, v38
	v_sub_f32_e32 v15, v33, v39
	v_add_f32_e32 v17, v36, v34
	v_add_f32_e32 v16, v37, v35
	v_sub_f32_e32 v18, v34, v36
	v_sub_f32_e32 v27, v35, v37
	ds_read2_b64 v[32:35], v4 offset0:99 offset1:110
	v_add_f32_e32 v8, v8, v0
	v_add_f32_e32 v7, v7, v1
	;; [unrolled: 1-line block ×8, first 2 shown]
	s_waitcnt lgkmcnt(0)
	v_add_f32_e32 v37, v35, v29
	v_sub_f32_e32 v39, v29, v35
	v_add_f32_e32 v29, v32, v30
	v_sub_f32_e32 v30, v30, v32
	v_add_f32_e32 v8, v8, v32
	v_add_f32_e32 v32, v7, v33
	;; [unrolled: 1-line block ×3, first 2 shown]
	v_sub_f32_e32 v38, v28, v34
	v_add_f32_e32 v7, v8, v34
	v_add_f32_e32 v8, v32, v35
	v_mul_f32_e32 v32, 0xbf0a6770, v39
	v_add_f32_e32 v40, v2, v0
	v_sub_f32_e32 v42, v0, v2
	v_mul_f32_e32 v0, 0xbf68dda4, v39
	v_mul_f32_e32 v2, 0xbf7d64f0, v39
	s_mov_b32 s6, 0xbe11bafb
	v_mul_f32_e32 v34, 0xbf4178ce, v39
	v_mul_f32_e32 v39, 0xbe903f40, v39
	v_add_f32_e32 v28, v33, v31
	v_sub_f32_e32 v31, v31, v33
	v_fma_f32 v33, v36, s7, -v32
	v_fmac_f32_e32 v32, 0x3f575c64, v36
	v_add_f32_e32 v41, v3, v1
	v_sub_f32_e32 v43, v1, v3
	v_fma_f32 v1, v36, s9, -v0
	v_fmac_f32_e32 v0, 0x3ed4b147, v36
	v_fma_f32 v3, v36, s6, -v2
	v_fmac_f32_e32 v2, 0xbe11bafb, v36
	;; [unrolled: 2-line block ×4, first 2 shown]
	v_mul_f32_e32 v36, 0xbf0a6770, v38
	v_mov_b32_e32 v45, v36
	v_mul_f32_e32 v46, 0xbf68dda4, v38
	v_mul_f32_e32 v48, 0xbf7d64f0, v38
	;; [unrolled: 1-line block ×4, first 2 shown]
	v_fmac_f32_e32 v45, 0x3f575c64, v37
	v_mov_b32_e32 v47, v46
	v_mov_b32_e32 v49, v48
	;; [unrolled: 1-line block ×4, first 2 shown]
	v_add_f32_e32 v55, v9, v2
	v_mul_f32_e32 v2, 0xbf68dda4, v31
	v_fma_f32 v36, v37, s7, -v36
	v_fmac_f32_e32 v47, 0x3ed4b147, v37
	v_fma_f32 v46, v37, s9, -v46
	v_fmac_f32_e32 v49, 0xbe11bafb, v37
	;; [unrolled: 2-line block ×4, first 2 shown]
	v_fma_f32 v37, v37, s11, -v38
	v_add_f32_e32 v33, v9, v33
	v_add_f32_e32 v38, v10, v45
	;; [unrolled: 1-line block ×10, first 2 shown]
	v_fma_f32 v0, v29, s9, -v2
	v_mul_f32_e32 v9, 0xbf7d64f0, v15
	v_add_f32_e32 v36, v10, v36
	v_add_f32_e32 v47, v10, v47
	;; [unrolled: 1-line block ×10, first 2 shown]
	v_mul_f32_e32 v3, 0xbf68dda4, v30
	v_fma_f32 v10, v13, s6, -v9
	v_mov_b32_e32 v1, v3
	v_add_f32_e32 v0, v10, v0
	v_mul_f32_e32 v10, 0xbf7d64f0, v14
	v_fmac_f32_e32 v1, 0x3ed4b147, v28
	v_mov_b32_e32 v33, v10
	v_add_f32_e32 v1, v1, v38
	v_fmac_f32_e32 v33, 0xbe11bafb, v5
	v_add_f32_e32 v1, v33, v1
	v_mul_f32_e32 v33, 0xbf4178ce, v27
	v_fma_f32 v34, v17, s10, -v33
	v_add_f32_e32 v0, v34, v0
	v_mul_f32_e32 v34, 0xbf4178ce, v18
	v_mov_b32_e32 v35, v34
	v_fmac_f32_e32 v35, 0xbf27a4f4, v16
	v_fmac_f32_e32 v2, 0x3ed4b147, v29
	v_add_f32_e32 v1, v35, v1
	v_mul_f32_e32 v35, 0xbe903f40, v43
	v_add_f32_e32 v2, v2, v32
	v_fma_f32 v3, v28, s9, -v3
	v_fmac_f32_e32 v9, 0xbe11bafb, v13
	v_fma_f32 v37, v40, s11, -v35
	v_add_f32_e32 v3, v3, v36
	v_add_f32_e32 v2, v9, v2
	v_fma_f32 v9, v5, s6, -v10
	v_add_f32_e32 v0, v37, v0
	v_mul_f32_e32 v37, 0xbe903f40, v42
	v_add_f32_e32 v3, v9, v3
	v_fma_f32 v9, v16, s10, -v34
	v_fmac_f32_e32 v33, 0xbf27a4f4, v17
	v_add_f32_e32 v3, v9, v3
	v_fma_f32 v9, v41, s11, -v37
	v_mul_f32_e32 v32, 0xbf4178ce, v31
	v_add_f32_e32 v2, v33, v2
	v_fmac_f32_e32 v35, 0xbf75a155, v40
	v_add_f32_e32 v3, v9, v3
	v_fma_f32 v9, v29, s10, -v32
	v_mul_f32_e32 v34, 0x3e903f40, v15
	v_add_f32_e32 v2, v35, v2
	v_add_f32_e32 v9, v9, v45
	v_mul_f32_e32 v33, 0xbf4178ce, v30
	v_fma_f32 v35, v13, s11, -v34
	v_mov_b32_e32 v10, v33
	v_add_f32_e32 v9, v35, v9
	v_mul_f32_e32 v35, 0x3e903f40, v14
	v_fmac_f32_e32 v10, 0xbf27a4f4, v28
	v_mov_b32_e32 v36, v35
	v_add_f32_e32 v10, v10, v47
	v_fmac_f32_e32 v36, 0xbf75a155, v5
	v_add_f32_e32 v10, v36, v10
	v_mul_f32_e32 v36, 0x3f7d64f0, v27
	v_mov_b32_e32 v38, v37
	v_fma_f32 v37, v17, s6, -v36
	v_fmac_f32_e32 v38, 0xbf75a155, v41
	v_add_f32_e32 v9, v37, v9
	v_mul_f32_e32 v37, 0x3f7d64f0, v18
	v_add_f32_e32 v1, v38, v1
	v_mov_b32_e32 v38, v37
	v_fmac_f32_e32 v38, 0xbe11bafb, v16
	v_fmac_f32_e32 v32, 0xbf27a4f4, v29
	v_add_f32_e32 v10, v38, v10
	v_mul_f32_e32 v38, 0x3f0a6770, v43
	v_add_f32_e32 v32, v32, v53
	v_fma_f32 v33, v28, s10, -v33
	v_fmac_f32_e32 v34, 0xbf75a155, v13
	v_fma_f32 v39, v40, s7, -v38
	v_add_f32_e32 v33, v33, v46
	v_add_f32_e32 v32, v34, v32
	v_fma_f32 v34, v5, s11, -v35
	v_add_f32_e32 v9, v39, v9
	v_mul_f32_e32 v39, 0x3f0a6770, v42
	v_add_f32_e32 v33, v34, v33
	v_fmac_f32_e32 v36, 0xbe11bafb, v17
	v_fma_f32 v34, v16, s6, -v37
	v_add_f32_e32 v32, v36, v32
	v_add_f32_e32 v33, v34, v33
	v_fmac_f32_e32 v38, 0x3f575c64, v40
	v_fma_f32 v34, v41, s7, -v39
	v_mul_f32_e32 v36, 0x3e903f40, v31
	v_add_f32_e32 v32, v38, v32
	v_add_f32_e32 v33, v34, v33
	v_fma_f32 v34, v29, s11, -v36
	v_mul_f32_e32 v38, 0x3f68dda4, v15
	v_mov_b32_e32 v45, v39
	v_add_f32_e32 v34, v34, v54
	v_mul_f32_e32 v37, 0x3e903f40, v30
	v_fma_f32 v39, v13, s9, -v38
	v_fmac_f32_e32 v45, 0x3f575c64, v41
	v_mov_b32_e32 v35, v37
	v_add_f32_e32 v34, v39, v34
	v_mul_f32_e32 v39, 0x3f68dda4, v14
	v_add_f32_e32 v10, v45, v10
	v_fmac_f32_e32 v35, 0xbf75a155, v28
	v_mov_b32_e32 v45, v39
	v_add_f32_e32 v35, v35, v49
	v_fmac_f32_e32 v45, 0x3ed4b147, v5
	v_add_f32_e32 v35, v45, v35
	v_mul_f32_e32 v45, 0xbf0a6770, v27
	v_fma_f32 v46, v17, s7, -v45
	v_add_f32_e32 v34, v46, v34
	v_mul_f32_e32 v46, 0xbf0a6770, v18
	v_mov_b32_e32 v47, v46
	v_fmac_f32_e32 v47, 0x3f575c64, v16
	v_fmac_f32_e32 v36, 0xbf75a155, v29
	v_add_f32_e32 v35, v47, v35
	v_mul_f32_e32 v47, 0xbf4178ce, v43
	v_add_f32_e32 v36, v36, v55
	v_fma_f32 v37, v28, s11, -v37
	v_fmac_f32_e32 v38, 0x3ed4b147, v13
	v_fma_f32 v49, v40, s10, -v47
	v_add_f32_e32 v37, v37, v48
	v_add_f32_e32 v36, v38, v36
	v_fma_f32 v38, v5, s9, -v39
	v_add_f32_e32 v34, v49, v34
	v_mul_f32_e32 v49, 0xbf4178ce, v42
	v_add_f32_e32 v37, v38, v37
	v_fmac_f32_e32 v45, 0x3f575c64, v17
	v_fma_f32 v38, v16, s7, -v46
	v_add_f32_e32 v36, v45, v36
	v_add_f32_e32 v37, v38, v37
	v_fmac_f32_e32 v47, 0xbf27a4f4, v40
	v_fma_f32 v38, v41, s10, -v49
	v_mul_f32_e32 v45, 0x3f7d64f0, v31
	v_add_f32_e32 v36, v47, v36
	v_add_f32_e32 v37, v38, v37
	v_fma_f32 v38, v29, s6, -v45
	v_mul_f32_e32 v47, 0xbf0a6770, v15
	v_add_f32_e32 v38, v38, v56
	v_mul_f32_e32 v46, 0x3f7d64f0, v30
	v_fma_f32 v48, v13, s7, -v47
	v_mov_b32_e32 v39, v46
	v_add_f32_e32 v38, v48, v38
	v_mul_f32_e32 v48, 0xbf0a6770, v14
	v_mov_b32_e32 v53, v49
	v_fmac_f32_e32 v39, 0xbe11bafb, v28
	v_mov_b32_e32 v49, v48
	v_add_f32_e32 v39, v39, v51
	v_fmac_f32_e32 v49, 0x3f575c64, v5
	v_add_f32_e32 v39, v49, v39
	v_mul_f32_e32 v49, 0xbe903f40, v27
	v_fma_f32 v46, v28, s6, -v46
	v_mul_f32_e32 v31, 0x3f0a6770, v31
	v_fma_f32 v51, v17, s11, -v49
	v_fmac_f32_e32 v45, 0xbe11bafb, v29
	v_add_f32_e32 v46, v46, v50
	v_fma_f32 v50, v29, s7, -v31
	v_mul_f32_e32 v30, 0x3f0a6770, v30
	v_fmac_f32_e32 v53, 0xbf27a4f4, v41
	v_add_f32_e32 v38, v51, v38
	v_mul_f32_e32 v51, 0xbe903f40, v18
	v_add_f32_e32 v45, v45, v57
	v_add_f32_e32 v44, v50, v44
	v_mov_b32_e32 v50, v30
	v_fmac_f32_e32 v47, 0x3f575c64, v13
	v_mul_f32_e32 v15, 0xbf4178ce, v15
	v_add_f32_e32 v35, v53, v35
	v_mov_b32_e32 v53, v51
	v_fmac_f32_e32 v50, 0x3f575c64, v28
	v_fma_f32 v28, v28, s7, -v30
	v_add_f32_e32 v30, v47, v45
	v_fma_f32 v45, v13, s10, -v15
	v_mul_f32_e32 v14, 0xbf4178ce, v14
	v_fmac_f32_e32 v53, 0xbf75a155, v16
	v_fmac_f32_e32 v31, 0x3f575c64, v29
	v_add_f32_e32 v44, v45, v44
	v_mov_b32_e32 v45, v14
	v_add_f32_e32 v39, v53, v39
	v_mul_f32_e32 v53, 0x3f68dda4, v43
	v_add_f32_e32 v29, v31, v58
	v_add_f32_e32 v28, v28, v59
	v_fma_f32 v31, v5, s7, -v48
	v_fmac_f32_e32 v45, 0xbf27a4f4, v5
	v_fmac_f32_e32 v15, 0xbf27a4f4, v13
	v_fma_f32 v5, v5, s10, -v14
	v_mul_f32_e32 v27, 0x3f68dda4, v27
	v_fma_f32 v54, v40, s9, -v53
	v_add_f32_e32 v13, v15, v29
	v_add_f32_e32 v5, v5, v28
	v_fmac_f32_e32 v49, 0xbf75a155, v17
	v_fma_f32 v28, v17, s9, -v27
	v_mul_f32_e32 v18, 0x3f68dda4, v18
	v_fmac_f32_e32 v27, 0x3ed4b147, v17
	v_add_f32_e32 v38, v54, v38
	v_mul_f32_e32 v54, 0x3f68dda4, v42
	v_add_f32_e32 v31, v31, v46
	v_add_f32_e32 v14, v49, v30
	v_fma_f32 v15, v16, s11, -v51
	v_add_f32_e32 v17, v27, v13
	v_fma_f32 v13, v16, s9, -v18
	v_fmac_f32_e32 v53, 0x3ed4b147, v40
	v_add_f32_e32 v15, v15, v31
	v_mov_b32_e32 v29, v18
	v_add_f32_e32 v5, v13, v5
	v_add_f32_e32 v13, v53, v14
	v_fma_f32 v14, v41, s9, -v54
	v_mul_f32_e32 v18, 0xbf7d64f0, v43
	v_add_f32_e32 v14, v14, v15
	v_fma_f32 v15, v40, s6, -v18
	v_mul_f32_e32 v27, 0xbf7d64f0, v42
	v_fmac_f32_e32 v18, 0xbe11bafb, v40
	v_add_f32_e32 v28, v28, v44
	v_add_f32_e32 v17, v18, v17
	v_fma_f32 v18, v41, s6, -v27
	v_fmac_f32_e32 v29, 0x3ed4b147, v16
	v_add_f32_e32 v15, v15, v28
	v_mov_b32_e32 v16, v27
	v_add_f32_e32 v18, v18, v5
	v_mad_u64_u32 v[27:28], s[12:13], v25, s12, v[4:5]
	v_mul_lo_u32 v5, v25, 10
	v_add_f32_e32 v50, v50, v52
	v_mov_b32_e32 v55, v54
	v_add_f32_e32 v45, v45, v50
	v_fmac_f32_e32 v55, 0x3ed4b147, v41
	v_add_f32_e32 v29, v29, v45
	v_fmac_f32_e32 v16, 0xbe11bafb, v41
	v_add_f32_e32 v39, v55, v39
	v_add_f32_e32 v16, v16, v29
	s_barrier
	ds_write2_b64 v27, v[7:8], v[0:1] offset1:1
	ds_write2_b64 v27, v[9:10], v[34:35] offset0:2 offset1:3
	ds_write2_b64 v27, v[38:39], v[15:16] offset0:4 offset1:5
	ds_write2_b64 v27, v[17:18], v[13:14] offset0:6 offset1:7
	ds_write2_b64 v27, v[36:37], v[32:33] offset0:8 offset1:9
	ds_write_b64 v27, v[2:3] offset:80
	v_lshlrev_b64 v[0:1], 3, v[5:6]
	v_mov_b32_e32 v2, s29
	v_add_co_u32_e32 v9, vcc, s28, v0
	v_addc_co_u32_e32 v10, vcc, v2, v1, vcc
	s_waitcnt lgkmcnt(0)
	s_barrier
	global_load_dwordx4 v[0:3], v[9:10], off
	global_load_dwordx4 v[5:8], v[9:10], off offset:16
	global_load_dwordx4 v[13:16], v[9:10], off offset:32
	;; [unrolled: 1-line block ×4, first 2 shown]
	ds_read2_b64 v[35:38], v4 offset0:11 offset1:22
	ds_read2_b64 v[39:42], v4 offset0:33 offset1:44
	s_waitcnt vmcnt(4) lgkmcnt(1)
	v_mul_f32_e32 v9, v1, v36
	v_mul_f32_e32 v18, v1, v35
	v_fma_f32 v17, v0, v35, -v9
	v_fmac_f32_e32 v18, v0, v36
	v_mul_f32_e32 v0, v3, v38
	v_mul_f32_e32 v36, v3, v37
	v_fma_f32 v35, v2, v37, -v0
	v_fmac_f32_e32 v36, v2, v38
	s_waitcnt vmcnt(3) lgkmcnt(0)
	v_mul_f32_e32 v0, v6, v40
	v_mul_f32_e32 v38, v6, v39
	v_fma_f32 v37, v5, v39, -v0
	v_fmac_f32_e32 v38, v5, v40
	ds_read2_b32 v[5:6], v4 offset0:110 offset1:111
	v_mul_f32_e32 v0, v8, v42
	v_fma_f32 v39, v7, v41, -v0
	ds_read2_b64 v[0:3], v4 offset0:66 offset1:77
	ds_read_b64 v[9:10], v4 offset:880
	v_mul_f32_e32 v40, v8, v41
	v_fmac_f32_e32 v40, v7, v42
	s_waitcnt vmcnt(2) lgkmcnt(2)
	v_mul_f32_e32 v7, v6, v14
	v_fma_f32 v41, v13, v5, -v7
	v_mul_f32_e32 v14, v14, v5
	s_waitcnt lgkmcnt(1)
	v_mul_f32_e32 v5, v1, v16
	v_fmac_f32_e32 v14, v6, v13
	v_fma_f32 v13, v0, v15, -v5
	ds_read2_b64 v[5:8], v4 offset0:88 offset1:99
	v_mul_f32_e32 v16, v0, v16
	s_waitcnt vmcnt(1)
	v_mul_f32_e32 v0, v3, v28
	v_fmac_f32_e32 v16, v1, v15
	v_fma_f32 v15, v2, v27, -v0
	v_mul_f32_e32 v28, v2, v28
	s_waitcnt lgkmcnt(0)
	v_mul_f32_e32 v0, v6, v30
	v_fmac_f32_e32 v28, v3, v27
	v_fma_f32 v3, v5, v29, -v0
	v_mul_f32_e32 v5, v5, v30
	s_waitcnt vmcnt(0)
	v_mul_f32_e32 v0, v8, v32
	v_fmac_f32_e32 v5, v6, v29
	v_fma_f32 v6, v7, v31, -v0
	v_mul_f32_e32 v7, v7, v32
	v_fmac_f32_e32 v7, v8, v31
	v_mul_f32_e32 v8, v9, v34
	v_mul_f32_e32 v0, v10, v34
	v_fmac_f32_e32 v8, v10, v33
	v_fma_f32 v2, v9, v33, -v0
	v_sub_f32_e32 v1, v18, v8
	v_add_f32_e32 v0, v17, v2
	v_mul_f32_e32 v9, 0xbf0a6770, v1
	v_mul_f32_e32 v27, 0xbf68dda4, v1
	;; [unrolled: 1-line block ×5, first 2 shown]
	v_sub_f32_e32 v44, v17, v2
	v_fma_f32 v10, v0, s7, -v9
	v_fmac_f32_e32 v9, 0x3f575c64, v0
	v_fma_f32 v29, v0, s9, -v27
	v_fmac_f32_e32 v27, 0x3ed4b147, v0
	;; [unrolled: 2-line block ×5, first 2 shown]
	v_add_f32_e32 v43, v18, v8
	v_mul_f32_e32 v0, 0xbf0a6770, v44
	v_mov_b32_e32 v45, v0
	v_fma_f32 v46, v43, s7, -v0
	v_mul_f32_e32 v0, 0xbf68dda4, v44
	v_mov_b32_e32 v47, v0
	v_fma_f32 v48, v43, s9, -v0
	;; [unrolled: 3-line block ×4, first 2 shown]
	ds_read_b64 v[0:1], v12
	v_mul_f32_e32 v12, 0xbe903f40, v44
	v_mov_b32_e32 v44, v12
	v_fmac_f32_e32 v45, 0x3f575c64, v43
	v_fmac_f32_e32 v47, 0x3ed4b147, v43
	;; [unrolled: 1-line block ×5, first 2 shown]
	v_fma_f32 v12, v43, s11, -v12
	s_waitcnt lgkmcnt(0)
	v_add_f32_e32 v17, v17, v0
	v_add_f32_e32 v18, v18, v1
	;; [unrolled: 1-line block ×30, first 2 shown]
	v_sub_f32_e32 v7, v36, v7
	v_add_f32_e32 v2, v2, v8
	v_add_f32_e32 v8, v35, v6
	v_mul_f32_e32 v18, 0xbf68dda4, v7
	v_add_f32_e32 v10, v10, v0
	v_add_f32_e32 v9, v9, v0
	;; [unrolled: 1-line block ×10, first 2 shown]
	v_sub_f32_e32 v6, v35, v6
	v_fma_f32 v34, v8, s9, -v18
	v_add_f32_e32 v10, v34, v10
	v_mul_f32_e32 v34, 0xbf68dda4, v6
	v_fmac_f32_e32 v18, 0x3ed4b147, v8
	v_mov_b32_e32 v35, v34
	v_add_f32_e32 v9, v18, v9
	v_fma_f32 v18, v17, s9, -v34
	v_mul_f32_e32 v34, 0xbf4178ce, v7
	v_fma_f32 v36, v8, s10, -v34
	v_fmac_f32_e32 v35, 0x3ed4b147, v17
	v_add_f32_e32 v29, v36, v29
	v_mul_f32_e32 v36, 0xbf4178ce, v6
	v_fmac_f32_e32 v34, 0xbf27a4f4, v8
	v_add_f32_e32 v35, v35, v43
	v_mov_b32_e32 v43, v36
	v_add_f32_e32 v27, v34, v27
	v_fma_f32 v34, v17, s10, -v36
	v_mul_f32_e32 v36, 0x3e903f40, v7
	v_add_f32_e32 v18, v18, v45
	v_fma_f32 v45, v8, s11, -v36
	v_fmac_f32_e32 v43, 0xbf27a4f4, v17
	v_add_f32_e32 v31, v45, v31
	v_mul_f32_e32 v45, 0x3e903f40, v6
	v_fmac_f32_e32 v36, 0xbf75a155, v8
	v_add_f32_e32 v43, v43, v46
	v_mov_b32_e32 v46, v45
	v_add_f32_e32 v30, v36, v30
	v_fma_f32 v36, v17, s11, -v45
	v_mul_f32_e32 v45, 0x3f7d64f0, v7
	v_add_f32_e32 v34, v34, v47
	v_fma_f32 v47, v8, s6, -v45
	v_fmac_f32_e32 v46, 0xbf75a155, v17
	v_add_f32_e32 v33, v47, v33
	v_mul_f32_e32 v47, 0x3f7d64f0, v6
	v_fmac_f32_e32 v45, 0xbe11bafb, v8
	v_mul_f32_e32 v7, 0x3f0a6770, v7
	v_add_f32_e32 v46, v46, v48
	v_mov_b32_e32 v48, v47
	v_add_f32_e32 v32, v45, v32
	v_fma_f32 v45, v17, s6, -v47
	v_fma_f32 v47, v8, s7, -v7
	v_mul_f32_e32 v6, 0x3f0a6770, v6
	v_add_f32_e32 v42, v47, v42
	v_mov_b32_e32 v47, v6
	v_fmac_f32_e32 v7, 0x3f575c64, v8
	v_fma_f32 v6, v17, s7, -v6
	v_add_f32_e32 v8, v38, v5
	v_sub_f32_e32 v5, v38, v5
	v_add_f32_e32 v0, v7, v0
	v_add_f32_e32 v6, v6, v12
	v_add_f32_e32 v7, v37, v3
	v_mul_f32_e32 v12, 0xbf7d64f0, v5
	v_fmac_f32_e32 v48, 0xbe11bafb, v17
	v_fmac_f32_e32 v47, 0x3f575c64, v17
	v_sub_f32_e32 v3, v37, v3
	v_fma_f32 v17, v7, s6, -v12
	v_add_f32_e32 v10, v17, v10
	v_mul_f32_e32 v17, 0xbf7d64f0, v3
	v_fmac_f32_e32 v12, 0xbe11bafb, v7
	v_mov_b32_e32 v37, v17
	v_add_f32_e32 v9, v12, v9
	v_fma_f32 v12, v8, s6, -v17
	v_mul_f32_e32 v17, 0x3e903f40, v5
	v_add_f32_e32 v12, v12, v18
	v_fma_f32 v18, v7, s11, -v17
	v_fmac_f32_e32 v37, 0xbe11bafb, v8
	v_add_f32_e32 v18, v18, v29
	v_mul_f32_e32 v29, 0x3e903f40, v3
	v_fmac_f32_e32 v17, 0xbf75a155, v7
	v_add_f32_e32 v35, v37, v35
	v_mov_b32_e32 v37, v29
	v_add_f32_e32 v17, v17, v27
	v_fma_f32 v27, v8, s11, -v29
	v_mul_f32_e32 v29, 0x3f68dda4, v5
	v_add_f32_e32 v27, v27, v34
	v_fma_f32 v34, v7, s9, -v29
	v_add_f32_e32 v31, v34, v31
	v_mul_f32_e32 v34, 0x3f68dda4, v3
	v_fmac_f32_e32 v29, 0x3ed4b147, v7
	v_add_f32_e32 v36, v36, v49
	v_mov_b32_e32 v38, v34
	v_add_f32_e32 v29, v29, v30
	v_fma_f32 v30, v8, s9, -v34
	v_mul_f32_e32 v34, 0xbf0a6770, v5
	v_add_f32_e32 v30, v30, v36
	v_fma_f32 v36, v7, s7, -v34
	v_fmac_f32_e32 v37, 0xbf75a155, v8
	v_add_f32_e32 v33, v36, v33
	v_mul_f32_e32 v36, 0xbf0a6770, v3
	v_fmac_f32_e32 v34, 0x3f575c64, v7
	v_mul_f32_e32 v5, 0xbf4178ce, v5
	v_add_f32_e32 v37, v37, v43
	v_mov_b32_e32 v43, v36
	v_add_f32_e32 v32, v34, v32
	v_fma_f32 v34, v8, s7, -v36
	v_fma_f32 v36, v7, s10, -v5
	v_mul_f32_e32 v3, 0xbf4178ce, v3
	v_add_f32_e32 v36, v36, v42
	v_mov_b32_e32 v42, v3
	v_fmac_f32_e32 v38, 0x3ed4b147, v8
	v_fmac_f32_e32 v43, 0x3f575c64, v8
	;; [unrolled: 1-line block ×4, first 2 shown]
	v_fma_f32 v3, v8, s10, -v3
	v_sub_f32_e32 v8, v40, v28
	v_add_f32_e32 v0, v5, v0
	v_add_f32_e32 v5, v39, v15
	v_sub_f32_e32 v7, v39, v15
	v_mul_f32_e32 v15, 0xbf4178ce, v8
	v_add_f32_e32 v3, v3, v6
	v_add_f32_e32 v6, v40, v28
	v_fma_f32 v28, v5, s10, -v15
	v_add_f32_e32 v10, v28, v10
	v_mul_f32_e32 v28, 0xbf4178ce, v7
	v_fmac_f32_e32 v15, 0xbf27a4f4, v5
	v_add_f32_e32 v9, v15, v9
	v_fma_f32 v15, v6, s10, -v28
	v_add_f32_e32 v12, v15, v12
	v_mul_f32_e32 v15, 0x3f7d64f0, v8
	v_mov_b32_e32 v39, v28
	v_fma_f32 v28, v5, s6, -v15
	v_add_f32_e32 v18, v28, v18
	v_mul_f32_e32 v28, 0x3f7d64f0, v7
	v_fmac_f32_e32 v15, 0xbe11bafb, v5
	v_add_f32_e32 v15, v15, v17
	v_fma_f32 v17, v6, s6, -v28
	v_fmac_f32_e32 v39, 0xbf27a4f4, v6
	v_add_f32_e32 v17, v17, v27
	v_mul_f32_e32 v27, 0xbf0a6770, v8
	v_add_f32_e32 v35, v39, v35
	v_mov_b32_e32 v39, v28
	v_fma_f32 v28, v5, s7, -v27
	v_fmac_f32_e32 v39, 0xbe11bafb, v6
	v_add_f32_e32 v31, v28, v31
	v_mul_f32_e32 v28, 0xbf0a6770, v7
	v_add_f32_e32 v37, v39, v37
	v_mov_b32_e32 v39, v28
	v_add_f32_e32 v38, v38, v46
	v_fmac_f32_e32 v39, 0x3f575c64, v6
	v_fmac_f32_e32 v27, 0x3f575c64, v5
	v_add_f32_e32 v38, v39, v38
	v_add_f32_e32 v39, v27, v29
	v_fma_f32 v27, v6, s7, -v28
	v_add_f32_e32 v40, v27, v30
	v_mul_f32_e32 v27, 0xbe903f40, v8
	v_fma_f32 v28, v5, s11, -v27
	v_add_f32_e32 v45, v45, v51
	v_add_f32_e32 v33, v28, v33
	v_mul_f32_e32 v28, 0xbe903f40, v7
	v_fmac_f32_e32 v27, 0xbf75a155, v5
	v_add_f32_e32 v34, v34, v45
	v_add_f32_e32 v32, v27, v32
	v_fma_f32 v27, v6, s11, -v28
	v_mul_f32_e32 v8, 0x3f68dda4, v8
	v_add_f32_e32 v34, v27, v34
	v_fma_f32 v27, v5, s9, -v8
	v_mul_f32_e32 v7, 0x3f68dda4, v7
	v_mov_b32_e32 v29, v28
	v_add_f32_e32 v36, v27, v36
	v_mov_b32_e32 v27, v7
	v_add_f32_e32 v45, v41, v13
	v_sub_f32_e32 v13, v41, v13
	v_sub_f32_e32 v41, v14, v16
	v_add_f32_e32 v44, v47, v44
	v_fmac_f32_e32 v29, 0xbf75a155, v6
	v_fmac_f32_e32 v27, 0x3ed4b147, v6
	;; [unrolled: 1-line block ×3, first 2 shown]
	v_fma_f32 v5, v6, s9, -v7
	v_mul_f32_e32 v6, 0xbe903f40, v41
	v_add_f32_e32 v42, v42, v44
	v_add_f32_e32 v44, v5, v3
	v_add_f32_e32 v46, v14, v16
	v_fma_f32 v3, v45, s11, -v6
	v_mul_f32_e32 v7, 0xbe903f40, v13
	v_fmac_f32_e32 v6, 0xbf75a155, v45
	v_add_f32_e32 v48, v48, v50
	v_add_f32_e32 v42, v27, v42
	;; [unrolled: 1-line block ×4, first 2 shown]
	v_fma_f32 v6, v46, s11, -v7
	v_mul_f32_e32 v8, 0x3f0a6770, v41
	v_add_f32_e32 v43, v43, v48
	v_add_f32_e32 v28, v6, v12
	v_fma_f32 v6, v45, s7, -v8
	v_mul_f32_e32 v9, 0x3f0a6770, v13
	v_fmac_f32_e32 v8, 0x3f575c64, v45
	v_add_f32_e32 v43, v29, v43
	v_add_f32_e32 v3, v3, v10
	;; [unrolled: 1-line block ×3, first 2 shown]
	v_fma_f32 v8, v46, s7, -v9
	v_mul_f32_e32 v10, 0xbf4178ce, v41
	v_add_f32_e32 v30, v8, v17
	v_fma_f32 v8, v45, s10, -v10
	v_mul_f32_e32 v12, 0xbf4178ce, v13
	v_fmac_f32_e32 v10, 0xbf27a4f4, v45
	v_mov_b32_e32 v5, v7
	v_add_f32_e32 v6, v6, v18
	v_mov_b32_e32 v7, v9
	v_mov_b32_e32 v9, v12
	v_add_f32_e32 v18, v10, v39
	v_fma_f32 v10, v46, s10, -v12
	v_mul_f32_e32 v12, 0x3f68dda4, v41
	v_add_f32_e32 v8, v8, v31
	v_add_f32_e32 v31, v10, v40
	v_fma_f32 v10, v45, s9, -v12
	v_mul_f32_e32 v15, 0x3f68dda4, v13
	v_fmac_f32_e32 v12, 0x3ed4b147, v45
	v_add_f32_e32 v10, v10, v33
	v_mov_b32_e32 v14, v15
	v_add_f32_e32 v16, v12, v32
	v_fma_f32 v12, v46, s9, -v15
	v_mul_f32_e32 v15, 0xbf7d64f0, v41
	v_mul_lo_u32 v33, v25, v11
	v_fmac_f32_e32 v14, 0x3ed4b147, v46
	v_add_f32_e32 v17, v12, v34
	v_fma_f32 v12, v45, s6, -v15
	v_mul_f32_e32 v32, 0xbf7d64f0, v13
	v_fmac_f32_e32 v15, 0xbe11bafb, v45
	v_add_f32_e32 v14, v14, v43
	v_mov_b32_e32 v13, v32
	v_add_f32_e32 v43, v15, v0
	v_fma_f32 v0, v46, s6, -v32
	v_mul_lo_u32 v32, v11, 11
	v_add_f32_e32 v44, v0, v44
	v_and_b32_e32 v0, 31, v33
	v_lshrrev_b32_e32 v15, 2, v33
	v_fmac_f32_e32 v5, 0xbf75a155, v46
	v_lshl_add_u32 v0, v0, 3, 0
	s_add_i32 s6, 0, 0x2998
	v_and_b32_e32 v15, 0xf8, v15
	v_add_f32_e32 v5, v5, v35
	v_add_f32_e32 v12, v12, v36
	v_add_u32_e32 v15, s6, v15
	v_lshrrev_b32_e32 v11, 7, v33
	v_add_u32_e32 v41, v33, v32
	ds_read_b64 v[33:34], v0 offset:10648
	ds_read_b64 v[35:36], v15 offset:256
	v_and_b32_e32 v11, 0xf8, v11
	v_fmac_f32_e32 v7, 0x3f575c64, v46
	v_fmac_f32_e32 v9, 0xbf27a4f4, v46
	v_add_u32_e32 v11, s6, v11
	v_and_b32_e32 v0, 31, v41
	v_add_f32_e32 v7, v7, v37
	v_add_f32_e32 v9, v9, v38
	v_lshl_add_u32 v0, v0, 3, 0
	ds_read_b64 v[37:38], v11 offset:512
	ds_read_b64 v[39:40], v0 offset:10648
	s_waitcnt lgkmcnt(2)
	v_mul_f32_e32 v0, v34, v36
	v_fma_f32 v0, v33, v35, -v0
	v_mul_f32_e32 v11, v33, v36
	v_fmac_f32_e32 v11, v34, v35
	s_waitcnt lgkmcnt(1)
	v_mul_f32_e32 v33, v0, v38
	v_mul_f32_e32 v15, v11, v38
	v_fmac_f32_e32 v33, v37, v11
	v_fma_f32 v15, v37, v0, -v15
	v_mul_f32_e32 v0, v2, v33
	v_fma_f32 v0, v1, v15, -v0
	v_mul_f32_e32 v1, v1, v33
	v_fmac_f32_e32 v1, v2, v15
	v_lshrrev_b32_e32 v2, 2, v41
	v_add_u32_e32 v15, v41, v32
	v_and_b32_e32 v2, 0xf8, v2
	v_and_b32_e32 v33, 31, v15
	v_add_u32_e32 v2, s6, v2
	v_lshl_add_u32 v37, v33, 3, 0
	v_lshrrev_b32_e32 v33, 2, v15
	v_and_b32_e32 v35, 0xf8, v33
	ds_read_b64 v[33:34], v2 offset:256
	v_lshrrev_b32_e32 v11, 7, v41
	v_and_b32_e32 v11, 0xf8, v11
	v_fmac_f32_e32 v13, 0xbe11bafb, v46
	v_add_u32_e32 v11, s6, v11
	v_add_f32_e32 v13, v13, v42
	v_add_u32_e32 v2, s6, v35
	ds_read_b64 v[35:36], v11 offset:512
	ds_read_b64 v[37:38], v37 offset:10648
	;; [unrolled: 1-line block ×3, first 2 shown]
	s_waitcnt lgkmcnt(3)
	v_mul_f32_e32 v2, v40, v34
	v_fma_f32 v2, v39, v33, -v2
	v_mul_f32_e32 v11, v39, v34
	v_fmac_f32_e32 v11, v40, v33
	s_waitcnt lgkmcnt(2)
	v_mul_f32_e32 v34, v2, v36
	v_mul_f32_e32 v33, v11, v36
	v_fmac_f32_e32 v34, v35, v11
	v_fma_f32 v33, v35, v2, -v33
	v_mul_f32_e32 v2, v5, v34
	v_fma_f32 v2, v3, v33, -v2
	v_mul_f32_e32 v3, v3, v34
	v_fmac_f32_e32 v3, v5, v33
	v_lshrrev_b32_e32 v5, 7, v15
	v_add_u32_e32 v15, v15, v32
	v_and_b32_e32 v33, 31, v15
	v_lshl_add_u32 v35, v33, 3, 0
	v_lshrrev_b32_e32 v33, 2, v15
	v_and_b32_e32 v5, 0xf8, v5
	s_waitcnt lgkmcnt(0)
	v_mul_f32_e32 v11, v38, v42
	v_and_b32_e32 v33, 0xf8, v33
	v_add_u32_e32 v5, s6, v5
	v_fma_f32 v11, v37, v41, -v11
	v_mul_f32_e32 v42, v37, v42
	v_add_u32_e32 v37, s6, v33
	v_lshrrev_b32_e32 v33, 7, v15
	v_and_b32_e32 v36, 0xf8, v33
	ds_read_b64 v[33:34], v5 offset:512
	v_fmac_f32_e32 v42, v38, v41
	v_add_u32_e32 v5, s6, v36
	ds_read_b64 v[35:36], v35 offset:10648
	ds_read_b64 v[37:38], v37 offset:256
	;; [unrolled: 1-line block ×3, first 2 shown]
	s_waitcnt lgkmcnt(3)
	v_mul_f32_e32 v5, v42, v34
	v_fma_f32 v41, v33, v11, -v5
	v_mul_f32_e32 v11, v11, v34
	v_fmac_f32_e32 v11, v33, v42
	v_mul_f32_e32 v5, v7, v11
	v_fma_f32 v5, v6, v41, -v5
	v_mul_f32_e32 v6, v6, v11
	v_fmac_f32_e32 v6, v7, v41
	s_waitcnt lgkmcnt(1)
	v_mul_f32_e32 v7, v36, v38
	v_fma_f32 v7, v35, v37, -v7
	v_mul_f32_e32 v11, v35, v38
	v_fmac_f32_e32 v11, v36, v37
	s_waitcnt lgkmcnt(0)
	v_mul_f32_e32 v34, v7, v40
	v_mul_f32_e32 v33, v11, v40
	v_fmac_f32_e32 v34, v39, v11
	v_fma_f32 v33, v39, v7, -v33
	v_mul_f32_e32 v7, v9, v34
	v_fma_f32 v7, v8, v33, -v7
	v_mul_f32_e32 v8, v8, v34
	v_fmac_f32_e32 v8, v9, v33
	v_add_u32_e32 v9, v15, v32
	v_and_b32_e32 v11, 31, v9
	v_lshrrev_b32_e32 v15, 2, v9
	v_lshrrev_b32_e32 v33, 7, v9
	v_lshl_add_u32 v11, v11, 3, 0
	v_and_b32_e32 v15, 0xf8, v15
	v_and_b32_e32 v33, 0xf8, v33
	v_add_u32_e32 v15, s6, v15
	v_add_u32_e32 v37, s6, v33
	ds_read_b64 v[33:34], v11 offset:10648
	ds_read_b64 v[35:36], v15 offset:256
	v_add_u32_e32 v41, v9, v32
	v_and_b32_e32 v9, 31, v41
	v_lshl_add_u32 v9, v9, 3, 0
	ds_read_b64 v[37:38], v37 offset:512
	ds_read_b64 v[39:40], v9 offset:10648
	s_waitcnt lgkmcnt(2)
	v_mul_f32_e32 v9, v34, v36
	v_fma_f32 v9, v33, v35, -v9
	v_mul_f32_e32 v11, v33, v36
	v_fmac_f32_e32 v11, v34, v35
	s_waitcnt lgkmcnt(1)
	v_mul_f32_e32 v33, v9, v38
	v_mul_f32_e32 v15, v11, v38
	v_fmac_f32_e32 v33, v37, v11
	v_fma_f32 v15, v37, v9, -v15
	v_mul_f32_e32 v9, v14, v33
	v_fma_f32 v9, v10, v15, -v9
	v_mul_f32_e32 v10, v10, v33
	v_fmac_f32_e32 v10, v14, v15
	v_lshrrev_b32_e32 v14, 7, v41
	v_lshrrev_b32_e32 v11, 2, v41
	v_and_b32_e32 v14, 0xf8, v14
	v_add_u32_e32 v41, v41, v32
	v_and_b32_e32 v11, 0xf8, v11
	v_add_u32_e32 v33, s6, v14
	;; [unrolled: 2-line block ×3, first 2 shown]
	v_lshl_add_u32 v35, v14, 3, 0
	v_lshrrev_b32_e32 v14, 2, v41
	v_and_b32_e32 v34, 0xf8, v14
	ds_read_b64 v[14:15], v11 offset:256
	v_add_u32_e32 v11, s6, v34
	ds_read_b64 v[33:34], v33 offset:512
	ds_read_b64 v[35:36], v35 offset:10648
	;; [unrolled: 1-line block ×3, first 2 shown]
	s_waitcnt lgkmcnt(3)
	v_mul_f32_e32 v11, v40, v15
	v_mul_f32_e32 v15, v39, v15
	v_fma_f32 v11, v39, v14, -v11
	v_fmac_f32_e32 v15, v40, v14
	s_waitcnt lgkmcnt(2)
	v_mul_f32_e32 v14, v15, v34
	v_mul_f32_e32 v34, v11, v34
	v_fmac_f32_e32 v34, v33, v15
	v_fma_f32 v14, v33, v11, -v14
	v_mul_f32_e32 v11, v13, v34
	v_fma_f32 v11, v12, v14, -v11
	v_mul_f32_e32 v12, v12, v34
	v_fmac_f32_e32 v12, v13, v14
	s_waitcnt lgkmcnt(0)
	v_mul_f32_e32 v14, v36, v38
	v_add_u32_e32 v40, v41, v32
	v_fma_f32 v15, v35, v37, -v14
	v_and_b32_e32 v14, 31, v40
	v_lshrrev_b32_e32 v13, 7, v41
	v_lshl_add_u32 v33, v14, 3, 0
	v_lshrrev_b32_e32 v14, 2, v40
	v_and_b32_e32 v13, 0xf8, v13
	v_and_b32_e32 v14, 0xf8, v14
	v_add_u32_e32 v13, s6, v13
	v_mul_f32_e32 v39, v35, v38
	v_add_u32_e32 v35, s6, v14
	v_lshrrev_b32_e32 v14, 7, v40
	v_and_b32_e32 v34, 0xf8, v14
	ds_read_b64 v[13:14], v13 offset:512
	v_fmac_f32_e32 v39, v36, v37
	v_add_u32_e32 v37, s6, v34
	ds_read_b64 v[33:34], v33 offset:10648
	ds_read_b64 v[35:36], v35 offset:256
	;; [unrolled: 1-line block ×3, first 2 shown]
	s_waitcnt lgkmcnt(3)
	v_mul_f32_e32 v41, v39, v14
	v_fma_f32 v41, v13, v15, -v41
	v_mul_f32_e32 v14, v15, v14
	s_waitcnt lgkmcnt(1)
	v_mul_f32_e32 v15, v34, v36
	v_fma_f32 v15, v33, v35, -v15
	v_mul_f32_e32 v33, v33, v36
	v_fmac_f32_e32 v33, v34, v35
	s_waitcnt lgkmcnt(0)
	v_mul_f32_e32 v35, v15, v38
	v_mul_f32_e32 v34, v33, v38
	v_fmac_f32_e32 v35, v37, v33
	v_fma_f32 v34, v37, v15, -v34
	v_mul_f32_e32 v15, v17, v35
	v_fma_f32 v15, v16, v34, -v15
	v_mul_f32_e32 v16, v16, v35
	v_fmac_f32_e32 v16, v17, v34
	v_add_u32_e32 v17, v40, v32
	v_lshrrev_b32_e32 v34, 2, v17
	v_and_b32_e32 v34, 0xf8, v34
	v_and_b32_e32 v33, 31, v17
	v_add_u32_e32 v35, s6, v34
	v_lshrrev_b32_e32 v34, 7, v17
	v_fmac_f32_e32 v14, v13, v39
	v_lshl_add_u32 v33, v33, 3, 0
	v_and_b32_e32 v34, 0xf8, v34
	v_mul_f32_e32 v13, v44, v14
	v_mul_f32_e32 v14, v43, v14
	v_add_u32_e32 v37, s6, v34
	ds_read_b64 v[33:34], v33 offset:10648
	ds_read_b64 v[35:36], v35 offset:256
	v_fma_f32 v13, v43, v41, -v13
	v_fmac_f32_e32 v14, v44, v41
	v_add_u32_e32 v41, v17, v32
	v_and_b32_e32 v17, 31, v41
	v_lshl_add_u32 v17, v17, 3, 0
	ds_read_b64 v[37:38], v37 offset:512
	ds_read_b64 v[39:40], v17 offset:10648
	s_waitcnt lgkmcnt(2)
	v_mul_f32_e32 v17, v34, v36
	v_fma_f32 v17, v33, v35, -v17
	v_mul_f32_e32 v33, v33, v36
	v_fmac_f32_e32 v33, v34, v35
	s_waitcnt lgkmcnt(1)
	v_mul_f32_e32 v35, v17, v38
	v_mul_f32_e32 v34, v33, v38
	v_fmac_f32_e32 v35, v37, v33
	v_fma_f32 v34, v37, v17, -v34
	v_mul_f32_e32 v17, v31, v35
	v_fma_f32 v17, v18, v34, -v17
	v_mul_f32_e32 v18, v18, v35
	v_fmac_f32_e32 v18, v31, v34
	v_lshrrev_b32_e32 v31, 2, v41
	v_lshrrev_b32_e32 v33, 7, v41
	v_add_u32_e32 v41, v41, v32
	v_and_b32_e32 v31, 0xf8, v31
	v_and_b32_e32 v32, 31, v41
	v_add_u32_e32 v31, s6, v31
	v_lshl_add_u32 v35, v32, 3, 0
	v_lshrrev_b32_e32 v32, 2, v41
	v_and_b32_e32 v34, 0xf8, v32
	ds_read_b64 v[31:32], v31 offset:256
	v_and_b32_e32 v33, 0xf8, v33
	v_add_u32_e32 v33, s6, v33
	v_add_u32_e32 v37, s6, v34
	ds_read_b64 v[33:34], v33 offset:512
	ds_read_b64 v[35:36], v35 offset:10648
	;; [unrolled: 1-line block ×3, first 2 shown]
	s_waitcnt lgkmcnt(3)
	v_mul_f32_e32 v42, v40, v32
	v_mul_f32_e32 v32, v39, v32
	v_fma_f32 v42, v39, v31, -v42
	v_fmac_f32_e32 v32, v40, v31
	s_waitcnt lgkmcnt(2)
	v_mul_f32_e32 v31, v32, v34
	v_mul_f32_e32 v34, v42, v34
	v_fmac_f32_e32 v34, v33, v32
	v_fma_f32 v39, v33, v42, -v31
	v_mul_f32_e32 v31, v30, v34
	v_fma_f32 v31, v29, v39, -v31
	v_mul_f32_e32 v32, v29, v34
	v_lshrrev_b32_e32 v29, 7, v41
	v_and_b32_e32 v29, 0xf8, v29
	v_add_u32_e32 v29, s6, v29
	v_fmac_f32_e32 v32, v30, v39
	ds_read_b64 v[29:30], v29 offset:512
	s_waitcnt lgkmcnt(1)
	v_mul_f32_e32 v33, v36, v38
	v_mul_f32_e32 v34, v35, v38
	v_fma_f32 v33, v35, v37, -v33
	v_fmac_f32_e32 v34, v36, v37
	s_waitcnt lgkmcnt(0)
	v_mul_f32_e32 v35, v34, v30
	v_mul_f32_e32 v30, v33, v30
	v_fmac_f32_e32 v30, v29, v34
	v_fma_f32 v35, v29, v33, -v35
	v_mul_f32_e32 v29, v28, v30
	v_mul_f32_e32 v30, v27, v30
	v_fma_f32 v29, v27, v35, -v29
	v_fmac_f32_e32 v30, v28, v35
	s_barrier
	ds_write2_b64 v4, v[0:1], v[2:3] offset1:11
	ds_write2_b64 v4, v[5:6], v[7:8] offset0:22 offset1:33
	ds_write2_b64 v4, v[9:10], v[11:12] offset0:44 offset1:55
	;; [unrolled: 1-line block ×4, first 2 shown]
	ds_write_b64 v4, v[29:30] offset:880
	s_waitcnt lgkmcnt(0)
	s_barrier
	s_and_saveexec_b64 s[6:7], s[0:1]
	s_cbranch_execz .LBB0_18
; %bb.17:
	v_mad_u64_u32 v[4:5], s[0:1], s18, v25, 0
	s_mul_i32 s5, s5, s8
	s_mul_hi_u32 s6, s4, s8
	s_add_i32 s1, s6, s5
	v_mad_u64_u32 v[6:7], s[6:7], s16, v19, 0
	v_mov_b32_e32 v0, v5
	v_mad_u64_u32 v[0:1], s[6:7], s19, v25, v[0:1]
	v_mov_b32_e32 v1, v7
	v_mad_u64_u32 v[1:2], s[6:7], s17, v19, v[1:2]
	s_movk_i32 s0, 0x3c8
	v_mul_lo_u32 v2, v25, s0
	s_mul_i32 s0, s4, s8
	s_lshl_b64 s[0:1], s[0:1], 3
	s_add_u32 s4, s22, s0
	v_mov_b32_e32 v5, v0
	s_addc_u32 s5, s23, s1
	s_lshl_b64 s[0:1], s[2:3], 3
	s_add_u32 s0, s4, s0
	v_lshlrev_b64 v[4:5], 3, v[4:5]
	s_addc_u32 s1, s5, s1
	v_mov_b32_e32 v7, v1
	v_mov_b32_e32 v8, s1
	v_add_co_u32_e32 v11, vcc, s0, v4
	v_addc_co_u32_e32 v12, vcc, v8, v5, vcc
	v_lshlrev_b64 v[4:5], 3, v[6:7]
	v_mad_u64_u32 v[6:7], s[0:1], s16, v24, 0
	v_add3_u32 v10, 0, v2, v26
	ds_read2_b64 v[0:3], v10 offset1:11
	v_mad_u64_u32 v[7:8], s[0:1], s17, v24, v[7:8]
	v_mad_u64_u32 v[8:9], s[0:1], s16, v23, 0
	v_add_co_u32_e32 v4, vcc, v11, v4
	v_addc_co_u32_e32 v5, vcc, v12, v5, vcc
	s_waitcnt lgkmcnt(0)
	global_store_dwordx2 v[4:5], v[0:1], off
	v_mov_b32_e32 v4, v9
	v_mad_u64_u32 v[4:5], s[0:1], s17, v23, v[4:5]
	v_lshlrev_b64 v[0:1], 3, v[6:7]
	v_mad_u64_u32 v[6:7], s[0:1], s16, v22, 0
	v_add_co_u32_e32 v0, vcc, v11, v0
	v_addc_co_u32_e32 v1, vcc, v12, v1, vcc
	v_mov_b32_e32 v9, v4
	global_store_dwordx2 v[0:1], v[2:3], off
	ds_read2_b64 v[0:3], v10 offset0:22 offset1:33
	v_lshlrev_b64 v[4:5], 3, v[8:9]
	v_mad_u64_u32 v[7:8], s[0:1], s17, v22, v[7:8]
	v_mad_u64_u32 v[8:9], s[0:1], s16, v21, 0
	v_add_co_u32_e32 v4, vcc, v11, v4
	v_addc_co_u32_e32 v5, vcc, v12, v5, vcc
	s_waitcnt lgkmcnt(0)
	global_store_dwordx2 v[4:5], v[0:1], off
	v_mov_b32_e32 v4, v9
	v_mad_u64_u32 v[4:5], s[0:1], s17, v21, v[4:5]
	v_lshlrev_b64 v[0:1], 3, v[6:7]
	v_mad_u64_u32 v[6:7], s[0:1], s16, v20, 0
	v_add_co_u32_e32 v0, vcc, v11, v0
	v_addc_co_u32_e32 v1, vcc, v12, v1, vcc
	v_mov_b32_e32 v9, v4
	global_store_dwordx2 v[0:1], v[2:3], off
	ds_read2_b64 v[0:3], v10 offset0:44 offset1:55
	v_lshlrev_b64 v[4:5], 3, v[8:9]
	v_mad_u64_u32 v[7:8], s[0:1], s17, v20, v[7:8]
	v_add_u32_e32 v13, 0x42, v19
	v_mad_u64_u32 v[8:9], s[0:1], s16, v13, 0
	v_add_co_u32_e32 v4, vcc, v11, v4
	v_addc_co_u32_e32 v5, vcc, v12, v5, vcc
	s_waitcnt lgkmcnt(0)
	global_store_dwordx2 v[4:5], v[0:1], off
	v_mov_b32_e32 v4, v9
	v_mad_u64_u32 v[4:5], s[0:1], s17, v13, v[4:5]
	v_lshlrev_b64 v[0:1], 3, v[6:7]
	v_add_u32_e32 v13, 0x58, v19
	v_mov_b32_e32 v9, v4
	v_lshlrev_b64 v[4:5], 3, v[8:9]
	v_add_u32_e32 v8, 0x4d, v19
	v_mad_u64_u32 v[6:7], s[0:1], s16, v8, 0
	v_add_co_u32_e32 v0, vcc, v11, v0
	v_addc_co_u32_e32 v1, vcc, v12, v1, vcc
	global_store_dwordx2 v[0:1], v[2:3], off
	ds_read2_b64 v[0:3], v10 offset0:66 offset1:77
	v_mad_u64_u32 v[7:8], s[0:1], s17, v8, v[7:8]
	v_mad_u64_u32 v[8:9], s[0:1], s16, v13, 0
	v_add_co_u32_e32 v4, vcc, v11, v4
	v_addc_co_u32_e32 v5, vcc, v12, v5, vcc
	s_waitcnt lgkmcnt(0)
	global_store_dwordx2 v[4:5], v[0:1], off
	v_mov_b32_e32 v4, v9
	v_mad_u64_u32 v[4:5], s[0:1], s17, v13, v[4:5]
	v_lshlrev_b64 v[0:1], 3, v[6:7]
	v_add_u32_e32 v13, 0x6e, v19
	v_mov_b32_e32 v9, v4
	v_lshlrev_b64 v[4:5], 3, v[8:9]
	v_add_u32_e32 v8, 0x63, v19
	v_mad_u64_u32 v[6:7], s[0:1], s16, v8, 0
	v_add_co_u32_e32 v0, vcc, v11, v0
	v_addc_co_u32_e32 v1, vcc, v12, v1, vcc
	global_store_dwordx2 v[0:1], v[2:3], off
	ds_read2_b64 v[0:3], v10 offset0:88 offset1:99
	v_mad_u64_u32 v[7:8], s[0:1], s17, v8, v[7:8]
	v_mad_u64_u32 v[8:9], s[0:1], s16, v13, 0
	v_add_co_u32_e32 v4, vcc, v11, v4
	v_addc_co_u32_e32 v5, vcc, v12, v5, vcc
	s_waitcnt lgkmcnt(0)
	global_store_dwordx2 v[4:5], v[0:1], off
	v_mov_b32_e32 v4, v9
	v_lshlrev_b64 v[0:1], 3, v[6:7]
	v_mad_u64_u32 v[4:5], s[0:1], s17, v13, v[4:5]
	v_add_co_u32_e32 v0, vcc, v11, v0
	v_addc_co_u32_e32 v1, vcc, v12, v1, vcc
	global_store_dwordx2 v[0:1], v[2:3], off
	v_mov_b32_e32 v9, v4
	ds_read_b64 v[0:1], v10 offset:880
	v_lshlrev_b64 v[2:3], 3, v[8:9]
	v_add_co_u32_e32 v2, vcc, v11, v2
	v_addc_co_u32_e32 v3, vcc, v12, v3, vcc
	s_waitcnt lgkmcnt(0)
	global_store_dwordx2 v[2:3], v[0:1], off
.LBB0_18:
	s_endpgm
	.section	.rodata,"a",@progbits
	.p2align	6, 0x0
	.amdhsa_kernel fft_rtc_fwd_len121_factors_11_11_wgs_121_tpt_11_sp_op_CI_CI_sbcc_twdbase5_3step
		.amdhsa_group_segment_fixed_size 0
		.amdhsa_private_segment_fixed_size 0
		.amdhsa_kernarg_size 112
		.amdhsa_user_sgpr_count 6
		.amdhsa_user_sgpr_private_segment_buffer 1
		.amdhsa_user_sgpr_dispatch_ptr 0
		.amdhsa_user_sgpr_queue_ptr 0
		.amdhsa_user_sgpr_kernarg_segment_ptr 1
		.amdhsa_user_sgpr_dispatch_id 0
		.amdhsa_user_sgpr_flat_scratch_init 0
		.amdhsa_user_sgpr_private_segment_size 0
		.amdhsa_uses_dynamic_stack 0
		.amdhsa_system_sgpr_private_segment_wavefront_offset 0
		.amdhsa_system_sgpr_workgroup_id_x 1
		.amdhsa_system_sgpr_workgroup_id_y 0
		.amdhsa_system_sgpr_workgroup_id_z 0
		.amdhsa_system_sgpr_workgroup_info 0
		.amdhsa_system_vgpr_workitem_id 0
		.amdhsa_next_free_vgpr 60
		.amdhsa_next_free_sgpr 55
		.amdhsa_reserve_vcc 1
		.amdhsa_reserve_flat_scratch 0
		.amdhsa_float_round_mode_32 0
		.amdhsa_float_round_mode_16_64 0
		.amdhsa_float_denorm_mode_32 3
		.amdhsa_float_denorm_mode_16_64 3
		.amdhsa_dx10_clamp 1
		.amdhsa_ieee_mode 1
		.amdhsa_fp16_overflow 0
		.amdhsa_exception_fp_ieee_invalid_op 0
		.amdhsa_exception_fp_denorm_src 0
		.amdhsa_exception_fp_ieee_div_zero 0
		.amdhsa_exception_fp_ieee_overflow 0
		.amdhsa_exception_fp_ieee_underflow 0
		.amdhsa_exception_fp_ieee_inexact 0
		.amdhsa_exception_int_div_zero 0
	.end_amdhsa_kernel
	.text
.Lfunc_end0:
	.size	fft_rtc_fwd_len121_factors_11_11_wgs_121_tpt_11_sp_op_CI_CI_sbcc_twdbase5_3step, .Lfunc_end0-fft_rtc_fwd_len121_factors_11_11_wgs_121_tpt_11_sp_op_CI_CI_sbcc_twdbase5_3step
                                        ; -- End function
	.section	.AMDGPU.csdata,"",@progbits
; Kernel info:
; codeLenInByte = 9388
; NumSgprs: 59
; NumVgprs: 60
; ScratchSize: 0
; MemoryBound: 0
; FloatMode: 240
; IeeeMode: 1
; LDSByteSize: 0 bytes/workgroup (compile time only)
; SGPRBlocks: 7
; VGPRBlocks: 14
; NumSGPRsForWavesPerEU: 59
; NumVGPRsForWavesPerEU: 60
; Occupancy: 4
; WaveLimiterHint : 1
; COMPUTE_PGM_RSRC2:SCRATCH_EN: 0
; COMPUTE_PGM_RSRC2:USER_SGPR: 6
; COMPUTE_PGM_RSRC2:TRAP_HANDLER: 0
; COMPUTE_PGM_RSRC2:TGID_X_EN: 1
; COMPUTE_PGM_RSRC2:TGID_Y_EN: 0
; COMPUTE_PGM_RSRC2:TGID_Z_EN: 0
; COMPUTE_PGM_RSRC2:TIDIG_COMP_CNT: 0
	.type	__hip_cuid_b9da28ae261680ad,@object ; @__hip_cuid_b9da28ae261680ad
	.section	.bss,"aw",@nobits
	.globl	__hip_cuid_b9da28ae261680ad
__hip_cuid_b9da28ae261680ad:
	.byte	0                               ; 0x0
	.size	__hip_cuid_b9da28ae261680ad, 1

	.ident	"AMD clang version 19.0.0git (https://github.com/RadeonOpenCompute/llvm-project roc-6.4.0 25133 c7fe45cf4b819c5991fe208aaa96edf142730f1d)"
	.section	".note.GNU-stack","",@progbits
	.addrsig
	.addrsig_sym __hip_cuid_b9da28ae261680ad
	.amdgpu_metadata
---
amdhsa.kernels:
  - .args:
      - .actual_access:  read_only
        .address_space:  global
        .offset:         0
        .size:           8
        .value_kind:     global_buffer
      - .address_space:  global
        .offset:         8
        .size:           8
        .value_kind:     global_buffer
      - .offset:         16
        .size:           8
        .value_kind:     by_value
      - .actual_access:  read_only
        .address_space:  global
        .offset:         24
        .size:           8
        .value_kind:     global_buffer
      - .actual_access:  read_only
        .address_space:  global
        .offset:         32
        .size:           8
        .value_kind:     global_buffer
      - .actual_access:  read_only
        .address_space:  global
        .offset:         40
        .size:           8
        .value_kind:     global_buffer
      - .offset:         48
        .size:           8
        .value_kind:     by_value
      - .actual_access:  read_only
        .address_space:  global
        .offset:         56
        .size:           8
        .value_kind:     global_buffer
      - .actual_access:  read_only
        .address_space:  global
        .offset:         64
        .size:           8
        .value_kind:     global_buffer
      - .offset:         72
        .size:           4
        .value_kind:     by_value
      - .actual_access:  read_only
        .address_space:  global
        .offset:         80
        .size:           8
        .value_kind:     global_buffer
      - .actual_access:  read_only
        .address_space:  global
        .offset:         88
        .size:           8
        .value_kind:     global_buffer
      - .actual_access:  read_only
        .address_space:  global
        .offset:         96
        .size:           8
        .value_kind:     global_buffer
      - .actual_access:  write_only
        .address_space:  global
        .offset:         104
        .size:           8
        .value_kind:     global_buffer
    .group_segment_fixed_size: 0
    .kernarg_segment_align: 8
    .kernarg_segment_size: 112
    .language:       OpenCL C
    .language_version:
      - 2
      - 0
    .max_flat_workgroup_size: 121
    .name:           fft_rtc_fwd_len121_factors_11_11_wgs_121_tpt_11_sp_op_CI_CI_sbcc_twdbase5_3step
    .private_segment_fixed_size: 0
    .sgpr_count:     59
    .sgpr_spill_count: 0
    .symbol:         fft_rtc_fwd_len121_factors_11_11_wgs_121_tpt_11_sp_op_CI_CI_sbcc_twdbase5_3step.kd
    .uniform_work_group_size: 1
    .uses_dynamic_stack: false
    .vgpr_count:     60
    .vgpr_spill_count: 0
    .wavefront_size: 64
amdhsa.target:   amdgcn-amd-amdhsa--gfx906
amdhsa.version:
  - 1
  - 2
...

	.end_amdgpu_metadata
